;; amdgpu-corpus repo=ROCm/aiter kind=compiled arch=gfx1250 opt=O3
	.amdgcn_target "amdgcn-amd-amdhsa--gfx1250"
	.amdhsa_code_object_version 6
	.section	.text._Z30dtype_convert_fp32_bf16_kernelILi256EEvPKfPfi,"axG",@progbits,_Z30dtype_convert_fp32_bf16_kernelILi256EEvPKfPfi,comdat
	.protected	_Z30dtype_convert_fp32_bf16_kernelILi256EEvPKfPfi ; -- Begin function _Z30dtype_convert_fp32_bf16_kernelILi256EEvPKfPfi
	.globl	_Z30dtype_convert_fp32_bf16_kernelILi256EEvPKfPfi
	.p2align	8
	.type	_Z30dtype_convert_fp32_bf16_kernelILi256EEvPKfPfi,@function
_Z30dtype_convert_fp32_bf16_kernelILi256EEvPKfPfi: ; @_Z30dtype_convert_fp32_bf16_kernelILi256EEvPKfPfi
; %bb.0:
	s_load_b32 s2, s[0:1], 0x10
	s_bfe_u32 s3, ttmp6, 0x4000c
	s_and_b32 s4, ttmp6, 15
	s_add_co_i32 s3, s3, 1
	s_getreg_b32 s5, hwreg(HW_REG_IB_STS2, 6, 4)
	s_mul_i32 s3, ttmp9, s3
	s_delay_alu instid0(SALU_CYCLE_1) | instskip(SKIP_2) | instid1(SALU_CYCLE_1)
	s_add_co_i32 s4, s4, s3
	s_cmp_eq_u32 s5, 0
	s_cselect_b32 s3, ttmp9, s4
	v_lshl_add_u32 v0, s3, 8, v0
	s_wait_kmcnt 0x0
	s_delay_alu instid0(VALU_DEP_1)
	v_cmp_gt_i32_e32 vcc_lo, s2, v0
	s_and_saveexec_b32 s2, vcc_lo
	s_cbranch_execz .LBB0_2
; %bb.1:
	s_load_b128 s[0:3], s[0:1], 0x0
	s_wait_kmcnt 0x0
	global_load_b32 v1, v0, s[0:1] scale_offset
	s_wait_loadcnt 0x0
	v_cvt_pk_bf16_f32 v1, v1, s0
	s_delay_alu instid0(VALU_DEP_1)
	v_lshlrev_b32_e32 v1, 16, v1
	global_store_b32 v0, v1, s[2:3] scale_offset
.LBB0_2:
	s_endpgm
	.section	.rodata,"a",@progbits
	.p2align	6, 0x0
	.amdhsa_kernel _Z30dtype_convert_fp32_bf16_kernelILi256EEvPKfPfi
		.amdhsa_group_segment_fixed_size 0
		.amdhsa_private_segment_fixed_size 0
		.amdhsa_kernarg_size 20
		.amdhsa_user_sgpr_count 2
		.amdhsa_user_sgpr_dispatch_ptr 0
		.amdhsa_user_sgpr_queue_ptr 0
		.amdhsa_user_sgpr_kernarg_segment_ptr 1
		.amdhsa_user_sgpr_dispatch_id 0
		.amdhsa_user_sgpr_kernarg_preload_length 0
		.amdhsa_user_sgpr_kernarg_preload_offset 0
		.amdhsa_user_sgpr_private_segment_size 0
		.amdhsa_wavefront_size32 1
		.amdhsa_uses_dynamic_stack 0
		.amdhsa_enable_private_segment 0
		.amdhsa_system_sgpr_workgroup_id_x 1
		.amdhsa_system_sgpr_workgroup_id_y 0
		.amdhsa_system_sgpr_workgroup_id_z 0
		.amdhsa_system_sgpr_workgroup_info 0
		.amdhsa_system_vgpr_workitem_id 0
		.amdhsa_next_free_vgpr 2
		.amdhsa_next_free_sgpr 6
		.amdhsa_named_barrier_count 0
		.amdhsa_reserve_vcc 1
		.amdhsa_float_round_mode_32 0
		.amdhsa_float_round_mode_16_64 0
		.amdhsa_float_denorm_mode_32 3
		.amdhsa_float_denorm_mode_16_64 3
		.amdhsa_fp16_overflow 0
		.amdhsa_memory_ordered 1
		.amdhsa_forward_progress 1
		.amdhsa_inst_pref_size 2
		.amdhsa_round_robin_scheduling 0
		.amdhsa_exception_fp_ieee_invalid_op 0
		.amdhsa_exception_fp_denorm_src 0
		.amdhsa_exception_fp_ieee_div_zero 0
		.amdhsa_exception_fp_ieee_overflow 0
		.amdhsa_exception_fp_ieee_underflow 0
		.amdhsa_exception_fp_ieee_inexact 0
		.amdhsa_exception_int_div_zero 0
	.end_amdhsa_kernel
	.section	.text._Z30dtype_convert_fp32_bf16_kernelILi256EEvPKfPfi,"axG",@progbits,_Z30dtype_convert_fp32_bf16_kernelILi256EEvPKfPfi,comdat
.Lfunc_end0:
	.size	_Z30dtype_convert_fp32_bf16_kernelILi256EEvPKfPfi, .Lfunc_end0-_Z30dtype_convert_fp32_bf16_kernelILi256EEvPKfPfi
                                        ; -- End function
	.set _Z30dtype_convert_fp32_bf16_kernelILi256EEvPKfPfi.num_vgpr, 2
	.set _Z30dtype_convert_fp32_bf16_kernelILi256EEvPKfPfi.num_agpr, 0
	.set _Z30dtype_convert_fp32_bf16_kernelILi256EEvPKfPfi.numbered_sgpr, 6
	.set _Z30dtype_convert_fp32_bf16_kernelILi256EEvPKfPfi.num_named_barrier, 0
	.set _Z30dtype_convert_fp32_bf16_kernelILi256EEvPKfPfi.private_seg_size, 0
	.set _Z30dtype_convert_fp32_bf16_kernelILi256EEvPKfPfi.uses_vcc, 1
	.set _Z30dtype_convert_fp32_bf16_kernelILi256EEvPKfPfi.uses_flat_scratch, 0
	.set _Z30dtype_convert_fp32_bf16_kernelILi256EEvPKfPfi.has_dyn_sized_stack, 0
	.set _Z30dtype_convert_fp32_bf16_kernelILi256EEvPKfPfi.has_recursion, 0
	.set _Z30dtype_convert_fp32_bf16_kernelILi256EEvPKfPfi.has_indirect_call, 0
	.section	.AMDGPU.csdata,"",@progbits
; Kernel info:
; codeLenInByte = 136
; TotalNumSgprs: 8
; NumVgprs: 2
; ScratchSize: 0
; MemoryBound: 0
; FloatMode: 240
; IeeeMode: 1
; LDSByteSize: 0 bytes/workgroup (compile time only)
; SGPRBlocks: 0
; VGPRBlocks: 0
; NumSGPRsForWavesPerEU: 8
; NumVGPRsForWavesPerEU: 2
; NamedBarCnt: 0
; Occupancy: 16
; WaveLimiterHint : 0
; COMPUTE_PGM_RSRC2:SCRATCH_EN: 0
; COMPUTE_PGM_RSRC2:USER_SGPR: 2
; COMPUTE_PGM_RSRC2:TRAP_HANDLER: 0
; COMPUTE_PGM_RSRC2:TGID_X_EN: 1
; COMPUTE_PGM_RSRC2:TGID_Y_EN: 0
; COMPUTE_PGM_RSRC2:TGID_Z_EN: 0
; COMPUTE_PGM_RSRC2:TIDIG_COMP_CNT: 0
	.section	.text._Z30dtype_convert_fp32_fp16_kernelILi256EEvPKfPfi,"axG",@progbits,_Z30dtype_convert_fp32_fp16_kernelILi256EEvPKfPfi,comdat
	.protected	_Z30dtype_convert_fp32_fp16_kernelILi256EEvPKfPfi ; -- Begin function _Z30dtype_convert_fp32_fp16_kernelILi256EEvPKfPfi
	.globl	_Z30dtype_convert_fp32_fp16_kernelILi256EEvPKfPfi
	.p2align	8
	.type	_Z30dtype_convert_fp32_fp16_kernelILi256EEvPKfPfi,@function
_Z30dtype_convert_fp32_fp16_kernelILi256EEvPKfPfi: ; @_Z30dtype_convert_fp32_fp16_kernelILi256EEvPKfPfi
; %bb.0:
	s_load_b32 s2, s[0:1], 0x10
	s_bfe_u32 s3, ttmp6, 0x4000c
	s_and_b32 s4, ttmp6, 15
	s_add_co_i32 s3, s3, 1
	s_getreg_b32 s5, hwreg(HW_REG_IB_STS2, 6, 4)
	s_mul_i32 s3, ttmp9, s3
	s_delay_alu instid0(SALU_CYCLE_1) | instskip(SKIP_2) | instid1(SALU_CYCLE_1)
	s_add_co_i32 s4, s4, s3
	s_cmp_eq_u32 s5, 0
	s_cselect_b32 s3, ttmp9, s4
	v_lshl_add_u32 v0, s3, 8, v0
	s_wait_kmcnt 0x0
	s_delay_alu instid0(VALU_DEP_1)
	v_cmp_gt_i32_e32 vcc_lo, s2, v0
	s_and_saveexec_b32 s2, vcc_lo
	s_cbranch_execz .LBB1_2
; %bb.1:
	s_load_b128 s[0:3], s[0:1], 0x0
	s_wait_kmcnt 0x0
	global_load_b32 v1, v0, s[0:1] scale_offset
	s_wait_loadcnt 0x0
	v_cvt_f16_f32_e32 v1, v1
	s_delay_alu instid0(VALU_DEP_1)
	v_cvt_f32_f16_e32 v1, v1
	global_store_b32 v0, v1, s[2:3] scale_offset
.LBB1_2:
	s_endpgm
	.section	.rodata,"a",@progbits
	.p2align	6, 0x0
	.amdhsa_kernel _Z30dtype_convert_fp32_fp16_kernelILi256EEvPKfPfi
		.amdhsa_group_segment_fixed_size 0
		.amdhsa_private_segment_fixed_size 0
		.amdhsa_kernarg_size 20
		.amdhsa_user_sgpr_count 2
		.amdhsa_user_sgpr_dispatch_ptr 0
		.amdhsa_user_sgpr_queue_ptr 0
		.amdhsa_user_sgpr_kernarg_segment_ptr 1
		.amdhsa_user_sgpr_dispatch_id 0
		.amdhsa_user_sgpr_kernarg_preload_length 0
		.amdhsa_user_sgpr_kernarg_preload_offset 0
		.amdhsa_user_sgpr_private_segment_size 0
		.amdhsa_wavefront_size32 1
		.amdhsa_uses_dynamic_stack 0
		.amdhsa_enable_private_segment 0
		.amdhsa_system_sgpr_workgroup_id_x 1
		.amdhsa_system_sgpr_workgroup_id_y 0
		.amdhsa_system_sgpr_workgroup_id_z 0
		.amdhsa_system_sgpr_workgroup_info 0
		.amdhsa_system_vgpr_workitem_id 0
		.amdhsa_next_free_vgpr 2
		.amdhsa_next_free_sgpr 6
		.amdhsa_named_barrier_count 0
		.amdhsa_reserve_vcc 1
		.amdhsa_float_round_mode_32 0
		.amdhsa_float_round_mode_16_64 0
		.amdhsa_float_denorm_mode_32 3
		.amdhsa_float_denorm_mode_16_64 3
		.amdhsa_fp16_overflow 0
		.amdhsa_memory_ordered 1
		.amdhsa_forward_progress 1
		.amdhsa_inst_pref_size 2
		.amdhsa_round_robin_scheduling 0
		.amdhsa_exception_fp_ieee_invalid_op 0
		.amdhsa_exception_fp_denorm_src 0
		.amdhsa_exception_fp_ieee_div_zero 0
		.amdhsa_exception_fp_ieee_overflow 0
		.amdhsa_exception_fp_ieee_underflow 0
		.amdhsa_exception_fp_ieee_inexact 0
		.amdhsa_exception_int_div_zero 0
	.end_amdhsa_kernel
	.section	.text._Z30dtype_convert_fp32_fp16_kernelILi256EEvPKfPfi,"axG",@progbits,_Z30dtype_convert_fp32_fp16_kernelILi256EEvPKfPfi,comdat
.Lfunc_end1:
	.size	_Z30dtype_convert_fp32_fp16_kernelILi256EEvPKfPfi, .Lfunc_end1-_Z30dtype_convert_fp32_fp16_kernelILi256EEvPKfPfi
                                        ; -- End function
	.set _Z30dtype_convert_fp32_fp16_kernelILi256EEvPKfPfi.num_vgpr, 2
	.set _Z30dtype_convert_fp32_fp16_kernelILi256EEvPKfPfi.num_agpr, 0
	.set _Z30dtype_convert_fp32_fp16_kernelILi256EEvPKfPfi.numbered_sgpr, 6
	.set _Z30dtype_convert_fp32_fp16_kernelILi256EEvPKfPfi.num_named_barrier, 0
	.set _Z30dtype_convert_fp32_fp16_kernelILi256EEvPKfPfi.private_seg_size, 0
	.set _Z30dtype_convert_fp32_fp16_kernelILi256EEvPKfPfi.uses_vcc, 1
	.set _Z30dtype_convert_fp32_fp16_kernelILi256EEvPKfPfi.uses_flat_scratch, 0
	.set _Z30dtype_convert_fp32_fp16_kernelILi256EEvPKfPfi.has_dyn_sized_stack, 0
	.set _Z30dtype_convert_fp32_fp16_kernelILi256EEvPKfPfi.has_recursion, 0
	.set _Z30dtype_convert_fp32_fp16_kernelILi256EEvPKfPfi.has_indirect_call, 0
	.section	.AMDGPU.csdata,"",@progbits
; Kernel info:
; codeLenInByte = 132
; TotalNumSgprs: 8
; NumVgprs: 2
; ScratchSize: 0
; MemoryBound: 0
; FloatMode: 240
; IeeeMode: 1
; LDSByteSize: 0 bytes/workgroup (compile time only)
; SGPRBlocks: 0
; VGPRBlocks: 0
; NumSGPRsForWavesPerEU: 8
; NumVGPRsForWavesPerEU: 2
; NamedBarCnt: 0
; Occupancy: 16
; WaveLimiterHint : 0
; COMPUTE_PGM_RSRC2:SCRATCH_EN: 0
; COMPUTE_PGM_RSRC2:USER_SGPR: 2
; COMPUTE_PGM_RSRC2:TRAP_HANDLER: 0
; COMPUTE_PGM_RSRC2:TGID_X_EN: 1
; COMPUTE_PGM_RSRC2:TGID_Y_EN: 0
; COMPUTE_PGM_RSRC2:TGID_Z_EN: 0
; COMPUTE_PGM_RSRC2:TIDIG_COMP_CNT: 0
	.section	.text._Z29dtype_convert_fp32_fp8_kernelILi256EEvPKfPfi,"axG",@progbits,_Z29dtype_convert_fp32_fp8_kernelILi256EEvPKfPfi,comdat
	.protected	_Z29dtype_convert_fp32_fp8_kernelILi256EEvPKfPfi ; -- Begin function _Z29dtype_convert_fp32_fp8_kernelILi256EEvPKfPfi
	.globl	_Z29dtype_convert_fp32_fp8_kernelILi256EEvPKfPfi
	.p2align	8
	.type	_Z29dtype_convert_fp32_fp8_kernelILi256EEvPKfPfi,@function
_Z29dtype_convert_fp32_fp8_kernelILi256EEvPKfPfi: ; @_Z29dtype_convert_fp32_fp8_kernelILi256EEvPKfPfi
; %bb.0:
	s_load_b32 s2, s[0:1], 0x10
	s_bfe_u32 s3, ttmp6, 0x4000c
	s_and_b32 s4, ttmp6, 15
	s_add_co_i32 s3, s3, 1
	s_getreg_b32 s5, hwreg(HW_REG_IB_STS2, 6, 4)
	s_mul_i32 s3, ttmp9, s3
	v_lshlrev_b32_e32 v0, 2, v0
	s_add_co_i32 s4, s4, s3
	s_cmp_eq_u32 s5, 0
	s_cselect_b32 s3, ttmp9, s4
	s_delay_alu instid0(VALU_DEP_1) | instid1(SALU_CYCLE_1)
	v_lshl_add_u32 v0, s3, 10, v0
	s_wait_kmcnt 0x0
	s_delay_alu instid0(VALU_DEP_1)
	v_cmp_gt_i32_e32 vcc_lo, s2, v0
	s_and_saveexec_b32 s2, vcc_lo
	s_cbranch_execz .LBB2_2
; %bb.1:
	s_load_b128 s[0:3], s[0:1], 0x0
	v_ashrrev_i32_e32 v1, 31, v0
	s_delay_alu instid0(VALU_DEP_1) | instskip(SKIP_1) | instid1(VALU_DEP_1)
	v_lshlrev_b64_e32 v[4:5], 2, v[0:1]
	s_wait_kmcnt 0x0
	v_add_nc_u64_e32 v[0:1], s[0:1], v[4:5]
	v_add_nc_u64_e32 v[4:5], s[2:3], v[4:5]
	global_load_b128 v[0:3], v[0:1], off
	s_wait_loadcnt 0x0
	v_cvt_pk_fp8_f32 v6, v0, v1
	s_delay_alu instid0(VALU_DEP_1) | instskip(NEXT) | instid1(VALU_DEP_1)
	v_cvt_pk_fp8_f32 v6, v2, v3 op_sel:[0,0,1]
	v_cvt_pk_f32_fp8_e32 v[0:1], v6
	v_cvt_pk_f32_fp8_e64 v[2:3], v6 op_sel:[1,0]
	global_store_b128 v[4:5], v[0:3], off
.LBB2_2:
	s_endpgm
	.section	.rodata,"a",@progbits
	.p2align	6, 0x0
	.amdhsa_kernel _Z29dtype_convert_fp32_fp8_kernelILi256EEvPKfPfi
		.amdhsa_group_segment_fixed_size 0
		.amdhsa_private_segment_fixed_size 0
		.amdhsa_kernarg_size 20
		.amdhsa_user_sgpr_count 2
		.amdhsa_user_sgpr_dispatch_ptr 0
		.amdhsa_user_sgpr_queue_ptr 0
		.amdhsa_user_sgpr_kernarg_segment_ptr 1
		.amdhsa_user_sgpr_dispatch_id 0
		.amdhsa_user_sgpr_kernarg_preload_length 0
		.amdhsa_user_sgpr_kernarg_preload_offset 0
		.amdhsa_user_sgpr_private_segment_size 0
		.amdhsa_wavefront_size32 1
		.amdhsa_uses_dynamic_stack 0
		.amdhsa_enable_private_segment 0
		.amdhsa_system_sgpr_workgroup_id_x 1
		.amdhsa_system_sgpr_workgroup_id_y 0
		.amdhsa_system_sgpr_workgroup_id_z 0
		.amdhsa_system_sgpr_workgroup_info 0
		.amdhsa_system_vgpr_workitem_id 0
		.amdhsa_next_free_vgpr 7
		.amdhsa_next_free_sgpr 6
		.amdhsa_named_barrier_count 0
		.amdhsa_reserve_vcc 1
		.amdhsa_float_round_mode_32 0
		.amdhsa_float_round_mode_16_64 0
		.amdhsa_float_denorm_mode_32 3
		.amdhsa_float_denorm_mode_16_64 3
		.amdhsa_fp16_overflow 0
		.amdhsa_memory_ordered 1
		.amdhsa_forward_progress 1
		.amdhsa_inst_pref_size 2
		.amdhsa_round_robin_scheduling 0
		.amdhsa_exception_fp_ieee_invalid_op 0
		.amdhsa_exception_fp_denorm_src 0
		.amdhsa_exception_fp_ieee_div_zero 0
		.amdhsa_exception_fp_ieee_overflow 0
		.amdhsa_exception_fp_ieee_underflow 0
		.amdhsa_exception_fp_ieee_inexact 0
		.amdhsa_exception_int_div_zero 0
	.end_amdhsa_kernel
	.section	.text._Z29dtype_convert_fp32_fp8_kernelILi256EEvPKfPfi,"axG",@progbits,_Z29dtype_convert_fp32_fp8_kernelILi256EEvPKfPfi,comdat
.Lfunc_end2:
	.size	_Z29dtype_convert_fp32_fp8_kernelILi256EEvPKfPfi, .Lfunc_end2-_Z29dtype_convert_fp32_fp8_kernelILi256EEvPKfPfi
                                        ; -- End function
	.set _Z29dtype_convert_fp32_fp8_kernelILi256EEvPKfPfi.num_vgpr, 7
	.set _Z29dtype_convert_fp32_fp8_kernelILi256EEvPKfPfi.num_agpr, 0
	.set _Z29dtype_convert_fp32_fp8_kernelILi256EEvPKfPfi.numbered_sgpr, 6
	.set _Z29dtype_convert_fp32_fp8_kernelILi256EEvPKfPfi.num_named_barrier, 0
	.set _Z29dtype_convert_fp32_fp8_kernelILi256EEvPKfPfi.private_seg_size, 0
	.set _Z29dtype_convert_fp32_fp8_kernelILi256EEvPKfPfi.uses_vcc, 1
	.set _Z29dtype_convert_fp32_fp8_kernelILi256EEvPKfPfi.uses_flat_scratch, 0
	.set _Z29dtype_convert_fp32_fp8_kernelILi256EEvPKfPfi.has_dyn_sized_stack, 0
	.set _Z29dtype_convert_fp32_fp8_kernelILi256EEvPKfPfi.has_recursion, 0
	.set _Z29dtype_convert_fp32_fp8_kernelILi256EEvPKfPfi.has_indirect_call, 0
	.section	.AMDGPU.csdata,"",@progbits
; Kernel info:
; codeLenInByte = 176
; TotalNumSgprs: 8
; NumVgprs: 7
; ScratchSize: 0
; MemoryBound: 0
; FloatMode: 240
; IeeeMode: 1
; LDSByteSize: 0 bytes/workgroup (compile time only)
; SGPRBlocks: 0
; VGPRBlocks: 0
; NumSGPRsForWavesPerEU: 8
; NumVGPRsForWavesPerEU: 7
; NamedBarCnt: 0
; Occupancy: 16
; WaveLimiterHint : 0
; COMPUTE_PGM_RSRC2:SCRATCH_EN: 0
; COMPUTE_PGM_RSRC2:USER_SGPR: 2
; COMPUTE_PGM_RSRC2:TRAP_HANDLER: 0
; COMPUTE_PGM_RSRC2:TGID_X_EN: 1
; COMPUTE_PGM_RSRC2:TGID_Y_EN: 0
; COMPUTE_PGM_RSRC2:TGID_Z_EN: 0
; COMPUTE_PGM_RSRC2:TIDIG_COMP_CNT: 0
	.section	.text._Z29dtype_convert_fp32_fp4_kernelILi256EEvPKfPfi,"axG",@progbits,_Z29dtype_convert_fp32_fp4_kernelILi256EEvPKfPfi,comdat
	.protected	_Z29dtype_convert_fp32_fp4_kernelILi256EEvPKfPfi ; -- Begin function _Z29dtype_convert_fp32_fp4_kernelILi256EEvPKfPfi
	.globl	_Z29dtype_convert_fp32_fp4_kernelILi256EEvPKfPfi
	.p2align	8
	.type	_Z29dtype_convert_fp32_fp4_kernelILi256EEvPKfPfi,@function
_Z29dtype_convert_fp32_fp4_kernelILi256EEvPKfPfi: ; @_Z29dtype_convert_fp32_fp4_kernelILi256EEvPKfPfi
; %bb.0:
	s_load_b32 s2, s[0:1], 0x10
	s_bfe_u32 s3, ttmp6, 0x4000c
	s_and_b32 s4, ttmp6, 15
	s_add_co_i32 s3, s3, 1
	s_getreg_b32 s5, hwreg(HW_REG_IB_STS2, 6, 4)
	s_mul_i32 s3, ttmp9, s3
	v_lshlrev_b32_e32 v0, 3, v0
	s_add_co_i32 s4, s4, s3
	s_cmp_eq_u32 s5, 0
	s_cselect_b32 s3, ttmp9, s4
	s_delay_alu instid0(VALU_DEP_1) | instid1(SALU_CYCLE_1)
	v_lshl_add_u32 v0, s3, 11, v0
	s_wait_kmcnt 0x0
	s_delay_alu instid0(VALU_DEP_1)
	v_cmp_gt_i32_e32 vcc_lo, s2, v0
	s_and_saveexec_b32 s2, vcc_lo
	s_cbranch_execz .LBB3_2
; %bb.1:
	s_load_b128 s[0:3], s[0:1], 0x0
	v_ashrrev_i32_e32 v1, 31, v0
	s_delay_alu instid0(VALU_DEP_1) | instskip(SKIP_1) | instid1(VALU_DEP_1)
	v_lshlrev_b64_e32 v[8:9], 2, v[0:1]
	s_wait_kmcnt 0x0
	v_add_nc_u64_e32 v[10:11], s[0:1], v[8:9]
	v_add_nc_u64_e32 v[8:9], s[2:3], v[8:9]
	s_clause 0x1
	global_load_b128 v[4:7], v[10:11], off offset:16
	global_load_b128 v[0:3], v[10:11], off
	s_wait_loadcnt 0x0
	v_cvt_scalef32_pk8_fp4_f32 v10, v[0:7], 1.0
	s_delay_alu instid0(VALU_DEP_1)
	v_cvt_scale_pk8_f32_fp4 v[0:7], v10, 0x7f7f7f7f
	s_clause 0x1
	global_store_b128 v[8:9], v[0:3], off
	global_store_b128 v[8:9], v[4:7], off offset:16
.LBB3_2:
	s_endpgm
	.section	.rodata,"a",@progbits
	.p2align	6, 0x0
	.amdhsa_kernel _Z29dtype_convert_fp32_fp4_kernelILi256EEvPKfPfi
		.amdhsa_group_segment_fixed_size 0
		.amdhsa_private_segment_fixed_size 0
		.amdhsa_kernarg_size 20
		.amdhsa_user_sgpr_count 2
		.amdhsa_user_sgpr_dispatch_ptr 0
		.amdhsa_user_sgpr_queue_ptr 0
		.amdhsa_user_sgpr_kernarg_segment_ptr 1
		.amdhsa_user_sgpr_dispatch_id 0
		.amdhsa_user_sgpr_kernarg_preload_length 0
		.amdhsa_user_sgpr_kernarg_preload_offset 0
		.amdhsa_user_sgpr_private_segment_size 0
		.amdhsa_wavefront_size32 1
		.amdhsa_uses_dynamic_stack 0
		.amdhsa_enable_private_segment 0
		.amdhsa_system_sgpr_workgroup_id_x 1
		.amdhsa_system_sgpr_workgroup_id_y 0
		.amdhsa_system_sgpr_workgroup_id_z 0
		.amdhsa_system_sgpr_workgroup_info 0
		.amdhsa_system_vgpr_workitem_id 0
		.amdhsa_next_free_vgpr 12
		.amdhsa_next_free_sgpr 6
		.amdhsa_named_barrier_count 0
		.amdhsa_reserve_vcc 1
		.amdhsa_float_round_mode_32 0
		.amdhsa_float_round_mode_16_64 0
		.amdhsa_float_denorm_mode_32 3
		.amdhsa_float_denorm_mode_16_64 3
		.amdhsa_fp16_overflow 0
		.amdhsa_memory_ordered 1
		.amdhsa_forward_progress 1
		.amdhsa_inst_pref_size 2
		.amdhsa_round_robin_scheduling 0
		.amdhsa_exception_fp_ieee_invalid_op 0
		.amdhsa_exception_fp_denorm_src 0
		.amdhsa_exception_fp_ieee_div_zero 0
		.amdhsa_exception_fp_ieee_overflow 0
		.amdhsa_exception_fp_ieee_underflow 0
		.amdhsa_exception_fp_ieee_inexact 0
		.amdhsa_exception_int_div_zero 0
	.end_amdhsa_kernel
	.section	.text._Z29dtype_convert_fp32_fp4_kernelILi256EEvPKfPfi,"axG",@progbits,_Z29dtype_convert_fp32_fp4_kernelILi256EEvPKfPfi,comdat
.Lfunc_end3:
	.size	_Z29dtype_convert_fp32_fp4_kernelILi256EEvPKfPfi, .Lfunc_end3-_Z29dtype_convert_fp32_fp4_kernelILi256EEvPKfPfi
                                        ; -- End function
	.set _Z29dtype_convert_fp32_fp4_kernelILi256EEvPKfPfi.num_vgpr, 12
	.set _Z29dtype_convert_fp32_fp4_kernelILi256EEvPKfPfi.num_agpr, 0
	.set _Z29dtype_convert_fp32_fp4_kernelILi256EEvPKfPfi.numbered_sgpr, 6
	.set _Z29dtype_convert_fp32_fp4_kernelILi256EEvPKfPfi.num_named_barrier, 0
	.set _Z29dtype_convert_fp32_fp4_kernelILi256EEvPKfPfi.private_seg_size, 0
	.set _Z29dtype_convert_fp32_fp4_kernelILi256EEvPKfPfi.uses_vcc, 1
	.set _Z29dtype_convert_fp32_fp4_kernelILi256EEvPKfPfi.uses_flat_scratch, 0
	.set _Z29dtype_convert_fp32_fp4_kernelILi256EEvPKfPfi.has_dyn_sized_stack, 0
	.set _Z29dtype_convert_fp32_fp4_kernelILi256EEvPKfPfi.has_recursion, 0
	.set _Z29dtype_convert_fp32_fp4_kernelILi256EEvPKfPfi.has_indirect_call, 0
	.section	.AMDGPU.csdata,"",@progbits
; Kernel info:
; codeLenInByte = 200
; TotalNumSgprs: 8
; NumVgprs: 12
; ScratchSize: 0
; MemoryBound: 0
; FloatMode: 240
; IeeeMode: 1
; LDSByteSize: 0 bytes/workgroup (compile time only)
; SGPRBlocks: 0
; VGPRBlocks: 0
; NumSGPRsForWavesPerEU: 8
; NumVGPRsForWavesPerEU: 12
; NamedBarCnt: 0
; Occupancy: 16
; WaveLimiterHint : 0
; COMPUTE_PGM_RSRC2:SCRATCH_EN: 0
; COMPUTE_PGM_RSRC2:USER_SGPR: 2
; COMPUTE_PGM_RSRC2:TRAP_HANDLER: 0
; COMPUTE_PGM_RSRC2:TGID_X_EN: 1
; COMPUTE_PGM_RSRC2:TGID_Y_EN: 0
; COMPUTE_PGM_RSRC2:TGID_Z_EN: 0
; COMPUTE_PGM_RSRC2:TIDIG_COMP_CNT: 0
	.section	.text._Z36dtype_convert_fp32_fp8_scalar_kernelILi256EEvPKfPfi,"axG",@progbits,_Z36dtype_convert_fp32_fp8_scalar_kernelILi256EEvPKfPfi,comdat
	.protected	_Z36dtype_convert_fp32_fp8_scalar_kernelILi256EEvPKfPfi ; -- Begin function _Z36dtype_convert_fp32_fp8_scalar_kernelILi256EEvPKfPfi
	.globl	_Z36dtype_convert_fp32_fp8_scalar_kernelILi256EEvPKfPfi
	.p2align	8
	.type	_Z36dtype_convert_fp32_fp8_scalar_kernelILi256EEvPKfPfi,@function
_Z36dtype_convert_fp32_fp8_scalar_kernelILi256EEvPKfPfi: ; @_Z36dtype_convert_fp32_fp8_scalar_kernelILi256EEvPKfPfi
; %bb.0:
	s_load_b32 s2, s[0:1], 0x10
	s_bfe_u32 s3, ttmp6, 0x4000c
	s_and_b32 s4, ttmp6, 15
	s_add_co_i32 s3, s3, 1
	s_getreg_b32 s5, hwreg(HW_REG_IB_STS2, 6, 4)
	s_mul_i32 s3, ttmp9, s3
	s_delay_alu instid0(SALU_CYCLE_1) | instskip(SKIP_2) | instid1(SALU_CYCLE_1)
	s_add_co_i32 s4, s4, s3
	s_cmp_eq_u32 s5, 0
	s_cselect_b32 s3, ttmp9, s4
	v_lshl_add_u32 v0, s3, 8, v0
	s_wait_kmcnt 0x0
	s_delay_alu instid0(VALU_DEP_1)
	v_cmp_gt_i32_e32 vcc_lo, s2, v0
	s_and_saveexec_b32 s2, vcc_lo
	s_cbranch_execz .LBB4_2
; %bb.1:
	s_load_b128 s[0:3], s[0:1], 0x0
	s_wait_kmcnt 0x0
	global_load_b32 v1, v0, s[0:1] scale_offset
	s_wait_loadcnt 0x0
	v_cvt_pk_fp8_f32 v1, v1, 0
	s_delay_alu instid0(VALU_DEP_1) | instskip(NEXT) | instid1(VALU_DEP_1)
	v_and_b32_e32 v1, 0xff, v1
	v_cvt_f32_fp8_e32 v1, v1
	global_store_b32 v0, v1, s[2:3] scale_offset
.LBB4_2:
	s_endpgm
	.section	.rodata,"a",@progbits
	.p2align	6, 0x0
	.amdhsa_kernel _Z36dtype_convert_fp32_fp8_scalar_kernelILi256EEvPKfPfi
		.amdhsa_group_segment_fixed_size 0
		.amdhsa_private_segment_fixed_size 0
		.amdhsa_kernarg_size 20
		.amdhsa_user_sgpr_count 2
		.amdhsa_user_sgpr_dispatch_ptr 0
		.amdhsa_user_sgpr_queue_ptr 0
		.amdhsa_user_sgpr_kernarg_segment_ptr 1
		.amdhsa_user_sgpr_dispatch_id 0
		.amdhsa_user_sgpr_kernarg_preload_length 0
		.amdhsa_user_sgpr_kernarg_preload_offset 0
		.amdhsa_user_sgpr_private_segment_size 0
		.amdhsa_wavefront_size32 1
		.amdhsa_uses_dynamic_stack 0
		.amdhsa_enable_private_segment 0
		.amdhsa_system_sgpr_workgroup_id_x 1
		.amdhsa_system_sgpr_workgroup_id_y 0
		.amdhsa_system_sgpr_workgroup_id_z 0
		.amdhsa_system_sgpr_workgroup_info 0
		.amdhsa_system_vgpr_workitem_id 0
		.amdhsa_next_free_vgpr 2
		.amdhsa_next_free_sgpr 6
		.amdhsa_named_barrier_count 0
		.amdhsa_reserve_vcc 1
		.amdhsa_float_round_mode_32 0
		.amdhsa_float_round_mode_16_64 0
		.amdhsa_float_denorm_mode_32 3
		.amdhsa_float_denorm_mode_16_64 3
		.amdhsa_fp16_overflow 0
		.amdhsa_memory_ordered 1
		.amdhsa_forward_progress 1
		.amdhsa_inst_pref_size 2
		.amdhsa_round_robin_scheduling 0
		.amdhsa_exception_fp_ieee_invalid_op 0
		.amdhsa_exception_fp_denorm_src 0
		.amdhsa_exception_fp_ieee_div_zero 0
		.amdhsa_exception_fp_ieee_overflow 0
		.amdhsa_exception_fp_ieee_underflow 0
		.amdhsa_exception_fp_ieee_inexact 0
		.amdhsa_exception_int_div_zero 0
	.end_amdhsa_kernel
	.section	.text._Z36dtype_convert_fp32_fp8_scalar_kernelILi256EEvPKfPfi,"axG",@progbits,_Z36dtype_convert_fp32_fp8_scalar_kernelILi256EEvPKfPfi,comdat
.Lfunc_end4:
	.size	_Z36dtype_convert_fp32_fp8_scalar_kernelILi256EEvPKfPfi, .Lfunc_end4-_Z36dtype_convert_fp32_fp8_scalar_kernelILi256EEvPKfPfi
                                        ; -- End function
	.set _Z36dtype_convert_fp32_fp8_scalar_kernelILi256EEvPKfPfi.num_vgpr, 2
	.set _Z36dtype_convert_fp32_fp8_scalar_kernelILi256EEvPKfPfi.num_agpr, 0
	.set _Z36dtype_convert_fp32_fp8_scalar_kernelILi256EEvPKfPfi.numbered_sgpr, 6
	.set _Z36dtype_convert_fp32_fp8_scalar_kernelILi256EEvPKfPfi.num_named_barrier, 0
	.set _Z36dtype_convert_fp32_fp8_scalar_kernelILi256EEvPKfPfi.private_seg_size, 0
	.set _Z36dtype_convert_fp32_fp8_scalar_kernelILi256EEvPKfPfi.uses_vcc, 1
	.set _Z36dtype_convert_fp32_fp8_scalar_kernelILi256EEvPKfPfi.uses_flat_scratch, 0
	.set _Z36dtype_convert_fp32_fp8_scalar_kernelILi256EEvPKfPfi.has_dyn_sized_stack, 0
	.set _Z36dtype_convert_fp32_fp8_scalar_kernelILi256EEvPKfPfi.has_recursion, 0
	.set _Z36dtype_convert_fp32_fp8_scalar_kernelILi256EEvPKfPfi.has_indirect_call, 0
	.section	.AMDGPU.csdata,"",@progbits
; Kernel info:
; codeLenInByte = 144
; TotalNumSgprs: 8
; NumVgprs: 2
; ScratchSize: 0
; MemoryBound: 0
; FloatMode: 240
; IeeeMode: 1
; LDSByteSize: 0 bytes/workgroup (compile time only)
; SGPRBlocks: 0
; VGPRBlocks: 0
; NumSGPRsForWavesPerEU: 8
; NumVGPRsForWavesPerEU: 2
; NamedBarCnt: 0
; Occupancy: 16
; WaveLimiterHint : 0
; COMPUTE_PGM_RSRC2:SCRATCH_EN: 0
; COMPUTE_PGM_RSRC2:USER_SGPR: 2
; COMPUTE_PGM_RSRC2:TRAP_HANDLER: 0
; COMPUTE_PGM_RSRC2:TGID_X_EN: 1
; COMPUTE_PGM_RSRC2:TGID_Y_EN: 0
; COMPUTE_PGM_RSRC2:TGID_Z_EN: 0
; COMPUTE_PGM_RSRC2:TIDIG_COMP_CNT: 0
	.section	.text._Z35dtype_convert_fp32_bf16_vec4_kernelILi256EEvPKfPfi,"axG",@progbits,_Z35dtype_convert_fp32_bf16_vec4_kernelILi256EEvPKfPfi,comdat
	.protected	_Z35dtype_convert_fp32_bf16_vec4_kernelILi256EEvPKfPfi ; -- Begin function _Z35dtype_convert_fp32_bf16_vec4_kernelILi256EEvPKfPfi
	.globl	_Z35dtype_convert_fp32_bf16_vec4_kernelILi256EEvPKfPfi
	.p2align	8
	.type	_Z35dtype_convert_fp32_bf16_vec4_kernelILi256EEvPKfPfi,@function
_Z35dtype_convert_fp32_bf16_vec4_kernelILi256EEvPKfPfi: ; @_Z35dtype_convert_fp32_bf16_vec4_kernelILi256EEvPKfPfi
; %bb.0:
	s_load_b32 s2, s[0:1], 0x10
	s_bfe_u32 s3, ttmp6, 0x4000c
	s_and_b32 s4, ttmp6, 15
	s_add_co_i32 s3, s3, 1
	s_getreg_b32 s5, hwreg(HW_REG_IB_STS2, 6, 4)
	s_mul_i32 s3, ttmp9, s3
	v_lshlrev_b32_e32 v0, 2, v0
	s_add_co_i32 s4, s4, s3
	s_cmp_eq_u32 s5, 0
	s_cselect_b32 s3, ttmp9, s4
	s_delay_alu instid0(VALU_DEP_1) | instid1(SALU_CYCLE_1)
	v_lshl_add_u32 v0, s3, 10, v0
	s_wait_kmcnt 0x0
	s_delay_alu instid0(VALU_DEP_1)
	v_cmp_gt_i32_e32 vcc_lo, s2, v0
	s_and_saveexec_b32 s2, vcc_lo
	s_cbranch_execz .LBB5_2
; %bb.1:
	s_load_b128 s[0:3], s[0:1], 0x0
	v_ashrrev_i32_e32 v1, 31, v0
	s_delay_alu instid0(VALU_DEP_1) | instskip(SKIP_1) | instid1(VALU_DEP_1)
	v_lshlrev_b64_e32 v[4:5], 2, v[0:1]
	s_wait_kmcnt 0x0
	v_add_nc_u64_e32 v[0:1], s[0:1], v[4:5]
	v_add_nc_u64_e32 v[4:5], s[2:3], v[4:5]
	global_load_b128 v[0:3], v[0:1], off
	s_wait_loadcnt 0x0
	v_cvt_pk_bf16_f32 v0, v0, v1
	v_cvt_pk_bf16_f32 v2, v2, v3
	s_delay_alu instid0(VALU_DEP_2) | instskip(SKIP_1) | instid1(VALU_DEP_3)
	v_and_b32_e32 v1, 0xffff0000, v0
	v_lshlrev_b32_e32 v0, 16, v0
	v_and_b32_e32 v3, 0xffff0000, v2
	v_lshlrev_b32_e32 v2, 16, v2
	global_store_b128 v[4:5], v[0:3], off
.LBB5_2:
	s_endpgm
	.section	.rodata,"a",@progbits
	.p2align	6, 0x0
	.amdhsa_kernel _Z35dtype_convert_fp32_bf16_vec4_kernelILi256EEvPKfPfi
		.amdhsa_group_segment_fixed_size 0
		.amdhsa_private_segment_fixed_size 0
		.amdhsa_kernarg_size 20
		.amdhsa_user_sgpr_count 2
		.amdhsa_user_sgpr_dispatch_ptr 0
		.amdhsa_user_sgpr_queue_ptr 0
		.amdhsa_user_sgpr_kernarg_segment_ptr 1
		.amdhsa_user_sgpr_dispatch_id 0
		.amdhsa_user_sgpr_kernarg_preload_length 0
		.amdhsa_user_sgpr_kernarg_preload_offset 0
		.amdhsa_user_sgpr_private_segment_size 0
		.amdhsa_wavefront_size32 1
		.amdhsa_uses_dynamic_stack 0
		.amdhsa_enable_private_segment 0
		.amdhsa_system_sgpr_workgroup_id_x 1
		.amdhsa_system_sgpr_workgroup_id_y 0
		.amdhsa_system_sgpr_workgroup_id_z 0
		.amdhsa_system_sgpr_workgroup_info 0
		.amdhsa_system_vgpr_workitem_id 0
		.amdhsa_next_free_vgpr 6
		.amdhsa_next_free_sgpr 6
		.amdhsa_named_barrier_count 0
		.amdhsa_reserve_vcc 1
		.amdhsa_float_round_mode_32 0
		.amdhsa_float_round_mode_16_64 0
		.amdhsa_float_denorm_mode_32 3
		.amdhsa_float_denorm_mode_16_64 3
		.amdhsa_fp16_overflow 0
		.amdhsa_memory_ordered 1
		.amdhsa_forward_progress 1
		.amdhsa_inst_pref_size 2
		.amdhsa_round_robin_scheduling 0
		.amdhsa_exception_fp_ieee_invalid_op 0
		.amdhsa_exception_fp_denorm_src 0
		.amdhsa_exception_fp_ieee_div_zero 0
		.amdhsa_exception_fp_ieee_overflow 0
		.amdhsa_exception_fp_ieee_underflow 0
		.amdhsa_exception_fp_ieee_inexact 0
		.amdhsa_exception_int_div_zero 0
	.end_amdhsa_kernel
	.section	.text._Z35dtype_convert_fp32_bf16_vec4_kernelILi256EEvPKfPfi,"axG",@progbits,_Z35dtype_convert_fp32_bf16_vec4_kernelILi256EEvPKfPfi,comdat
.Lfunc_end5:
	.size	_Z35dtype_convert_fp32_bf16_vec4_kernelILi256EEvPKfPfi, .Lfunc_end5-_Z35dtype_convert_fp32_bf16_vec4_kernelILi256EEvPKfPfi
                                        ; -- End function
	.set _Z35dtype_convert_fp32_bf16_vec4_kernelILi256EEvPKfPfi.num_vgpr, 6
	.set _Z35dtype_convert_fp32_bf16_vec4_kernelILi256EEvPKfPfi.num_agpr, 0
	.set _Z35dtype_convert_fp32_bf16_vec4_kernelILi256EEvPKfPfi.numbered_sgpr, 6
	.set _Z35dtype_convert_fp32_bf16_vec4_kernelILi256EEvPKfPfi.num_named_barrier, 0
	.set _Z35dtype_convert_fp32_bf16_vec4_kernelILi256EEvPKfPfi.private_seg_size, 0
	.set _Z35dtype_convert_fp32_bf16_vec4_kernelILi256EEvPKfPfi.uses_vcc, 1
	.set _Z35dtype_convert_fp32_bf16_vec4_kernelILi256EEvPKfPfi.uses_flat_scratch, 0
	.set _Z35dtype_convert_fp32_bf16_vec4_kernelILi256EEvPKfPfi.has_dyn_sized_stack, 0
	.set _Z35dtype_convert_fp32_bf16_vec4_kernelILi256EEvPKfPfi.has_recursion, 0
	.set _Z35dtype_convert_fp32_bf16_vec4_kernelILi256EEvPKfPfi.has_indirect_call, 0
	.section	.AMDGPU.csdata,"",@progbits
; Kernel info:
; codeLenInByte = 188
; TotalNumSgprs: 8
; NumVgprs: 6
; ScratchSize: 0
; MemoryBound: 0
; FloatMode: 240
; IeeeMode: 1
; LDSByteSize: 0 bytes/workgroup (compile time only)
; SGPRBlocks: 0
; VGPRBlocks: 0
; NumSGPRsForWavesPerEU: 8
; NumVGPRsForWavesPerEU: 6
; NamedBarCnt: 0
; Occupancy: 16
; WaveLimiterHint : 0
; COMPUTE_PGM_RSRC2:SCRATCH_EN: 0
; COMPUTE_PGM_RSRC2:USER_SGPR: 2
; COMPUTE_PGM_RSRC2:TRAP_HANDLER: 0
; COMPUTE_PGM_RSRC2:TGID_X_EN: 1
; COMPUTE_PGM_RSRC2:TGID_Y_EN: 0
; COMPUTE_PGM_RSRC2:TGID_Z_EN: 0
; COMPUTE_PGM_RSRC2:TIDIG_COMP_CNT: 0
	.section	.text._Z35dtype_convert_fp32_fp16_vec4_kernelILi256EEvPKfPfi,"axG",@progbits,_Z35dtype_convert_fp32_fp16_vec4_kernelILi256EEvPKfPfi,comdat
	.protected	_Z35dtype_convert_fp32_fp16_vec4_kernelILi256EEvPKfPfi ; -- Begin function _Z35dtype_convert_fp32_fp16_vec4_kernelILi256EEvPKfPfi
	.globl	_Z35dtype_convert_fp32_fp16_vec4_kernelILi256EEvPKfPfi
	.p2align	8
	.type	_Z35dtype_convert_fp32_fp16_vec4_kernelILi256EEvPKfPfi,@function
_Z35dtype_convert_fp32_fp16_vec4_kernelILi256EEvPKfPfi: ; @_Z35dtype_convert_fp32_fp16_vec4_kernelILi256EEvPKfPfi
; %bb.0:
	s_load_b32 s2, s[0:1], 0x10
	s_bfe_u32 s3, ttmp6, 0x4000c
	s_and_b32 s4, ttmp6, 15
	s_add_co_i32 s3, s3, 1
	s_getreg_b32 s5, hwreg(HW_REG_IB_STS2, 6, 4)
	s_mul_i32 s3, ttmp9, s3
	v_lshlrev_b32_e32 v0, 2, v0
	s_add_co_i32 s4, s4, s3
	s_cmp_eq_u32 s5, 0
	s_cselect_b32 s3, ttmp9, s4
	s_delay_alu instid0(VALU_DEP_1) | instid1(SALU_CYCLE_1)
	v_lshl_add_u32 v0, s3, 10, v0
	s_wait_kmcnt 0x0
	s_delay_alu instid0(VALU_DEP_1)
	v_cmp_gt_i32_e32 vcc_lo, s2, v0
	s_and_saveexec_b32 s2, vcc_lo
	s_cbranch_execz .LBB6_2
; %bb.1:
	s_load_b128 s[0:3], s[0:1], 0x0
	v_ashrrev_i32_e32 v1, 31, v0
	s_delay_alu instid0(VALU_DEP_1) | instskip(SKIP_1) | instid1(VALU_DEP_1)
	v_lshlrev_b64_e32 v[4:5], 2, v[0:1]
	s_wait_kmcnt 0x0
	v_add_nc_u64_e32 v[0:1], s[0:1], v[4:5]
	v_add_nc_u64_e32 v[4:5], s[2:3], v[4:5]
	global_load_b128 v[0:3], v[0:1], off
	s_wait_loadcnt 0x0
	v_cvt_pk_f16_f32 v0, v0, v1
	v_cvt_pk_f16_f32 v1, v2, v3
	s_delay_alu instid0(VALU_DEP_1) | instskip(SKIP_2) | instid1(VALU_DEP_3)
	v_dual_lshrrev_b32 v3, 16, v0 :: v_dual_lshrrev_b32 v6, 16, v1
	v_cvt_f32_f16_e32 v0, v0
	v_cvt_f32_f16_e32 v2, v1
	;; [unrolled: 1-line block ×3, first 2 shown]
	s_delay_alu instid0(VALU_DEP_4)
	v_cvt_f32_f16_e32 v3, v6
	global_store_b128 v[4:5], v[0:3], off
.LBB6_2:
	s_endpgm
	.section	.rodata,"a",@progbits
	.p2align	6, 0x0
	.amdhsa_kernel _Z35dtype_convert_fp32_fp16_vec4_kernelILi256EEvPKfPfi
		.amdhsa_group_segment_fixed_size 0
		.amdhsa_private_segment_fixed_size 0
		.amdhsa_kernarg_size 20
		.amdhsa_user_sgpr_count 2
		.amdhsa_user_sgpr_dispatch_ptr 0
		.amdhsa_user_sgpr_queue_ptr 0
		.amdhsa_user_sgpr_kernarg_segment_ptr 1
		.amdhsa_user_sgpr_dispatch_id 0
		.amdhsa_user_sgpr_kernarg_preload_length 0
		.amdhsa_user_sgpr_kernarg_preload_offset 0
		.amdhsa_user_sgpr_private_segment_size 0
		.amdhsa_wavefront_size32 1
		.amdhsa_uses_dynamic_stack 0
		.amdhsa_enable_private_segment 0
		.amdhsa_system_sgpr_workgroup_id_x 1
		.amdhsa_system_sgpr_workgroup_id_y 0
		.amdhsa_system_sgpr_workgroup_id_z 0
		.amdhsa_system_sgpr_workgroup_info 0
		.amdhsa_system_vgpr_workitem_id 0
		.amdhsa_next_free_vgpr 7
		.amdhsa_next_free_sgpr 6
		.amdhsa_named_barrier_count 0
		.amdhsa_reserve_vcc 1
		.amdhsa_float_round_mode_32 0
		.amdhsa_float_round_mode_16_64 0
		.amdhsa_float_denorm_mode_32 3
		.amdhsa_float_denorm_mode_16_64 3
		.amdhsa_fp16_overflow 0
		.amdhsa_memory_ordered 1
		.amdhsa_forward_progress 1
		.amdhsa_inst_pref_size 2
		.amdhsa_round_robin_scheduling 0
		.amdhsa_exception_fp_ieee_invalid_op 0
		.amdhsa_exception_fp_denorm_src 0
		.amdhsa_exception_fp_ieee_div_zero 0
		.amdhsa_exception_fp_ieee_overflow 0
		.amdhsa_exception_fp_ieee_underflow 0
		.amdhsa_exception_fp_ieee_inexact 0
		.amdhsa_exception_int_div_zero 0
	.end_amdhsa_kernel
	.section	.text._Z35dtype_convert_fp32_fp16_vec4_kernelILi256EEvPKfPfi,"axG",@progbits,_Z35dtype_convert_fp32_fp16_vec4_kernelILi256EEvPKfPfi,comdat
.Lfunc_end6:
	.size	_Z35dtype_convert_fp32_fp16_vec4_kernelILi256EEvPKfPfi, .Lfunc_end6-_Z35dtype_convert_fp32_fp16_vec4_kernelILi256EEvPKfPfi
                                        ; -- End function
	.set _Z35dtype_convert_fp32_fp16_vec4_kernelILi256EEvPKfPfi.num_vgpr, 7
	.set _Z35dtype_convert_fp32_fp16_vec4_kernelILi256EEvPKfPfi.num_agpr, 0
	.set _Z35dtype_convert_fp32_fp16_vec4_kernelILi256EEvPKfPfi.numbered_sgpr, 6
	.set _Z35dtype_convert_fp32_fp16_vec4_kernelILi256EEvPKfPfi.num_named_barrier, 0
	.set _Z35dtype_convert_fp32_fp16_vec4_kernelILi256EEvPKfPfi.private_seg_size, 0
	.set _Z35dtype_convert_fp32_fp16_vec4_kernelILi256EEvPKfPfi.uses_vcc, 1
	.set _Z35dtype_convert_fp32_fp16_vec4_kernelILi256EEvPKfPfi.uses_flat_scratch, 0
	.set _Z35dtype_convert_fp32_fp16_vec4_kernelILi256EEvPKfPfi.has_dyn_sized_stack, 0
	.set _Z35dtype_convert_fp32_fp16_vec4_kernelILi256EEvPKfPfi.has_recursion, 0
	.set _Z35dtype_convert_fp32_fp16_vec4_kernelILi256EEvPKfPfi.has_indirect_call, 0
	.section	.AMDGPU.csdata,"",@progbits
; Kernel info:
; codeLenInByte = 196
; TotalNumSgprs: 8
; NumVgprs: 7
; ScratchSize: 0
; MemoryBound: 0
; FloatMode: 240
; IeeeMode: 1
; LDSByteSize: 0 bytes/workgroup (compile time only)
; SGPRBlocks: 0
; VGPRBlocks: 0
; NumSGPRsForWavesPerEU: 8
; NumVGPRsForWavesPerEU: 7
; NamedBarCnt: 0
; Occupancy: 16
; WaveLimiterHint : 0
; COMPUTE_PGM_RSRC2:SCRATCH_EN: 0
; COMPUTE_PGM_RSRC2:USER_SGPR: 2
; COMPUTE_PGM_RSRC2:TRAP_HANDLER: 0
; COMPUTE_PGM_RSRC2:TGID_X_EN: 1
; COMPUTE_PGM_RSRC2:TGID_Y_EN: 0
; COMPUTE_PGM_RSRC2:TGID_Z_EN: 0
; COMPUTE_PGM_RSRC2:TIDIG_COMP_CNT: 0
	.section	.text._Z32dtype_convert_fp32_fp8_x2_kernelILi256EEvPKfPfi,"axG",@progbits,_Z32dtype_convert_fp32_fp8_x2_kernelILi256EEvPKfPfi,comdat
	.protected	_Z32dtype_convert_fp32_fp8_x2_kernelILi256EEvPKfPfi ; -- Begin function _Z32dtype_convert_fp32_fp8_x2_kernelILi256EEvPKfPfi
	.globl	_Z32dtype_convert_fp32_fp8_x2_kernelILi256EEvPKfPfi
	.p2align	8
	.type	_Z32dtype_convert_fp32_fp8_x2_kernelILi256EEvPKfPfi,@function
_Z32dtype_convert_fp32_fp8_x2_kernelILi256EEvPKfPfi: ; @_Z32dtype_convert_fp32_fp8_x2_kernelILi256EEvPKfPfi
; %bb.0:
	s_load_b32 s2, s[0:1], 0x10
	s_bfe_u32 s3, ttmp6, 0x4000c
	s_and_b32 s4, ttmp6, 15
	s_add_co_i32 s3, s3, 1
	s_getreg_b32 s5, hwreg(HW_REG_IB_STS2, 6, 4)
	s_mul_i32 s3, ttmp9, s3
	v_lshlrev_b32_e32 v0, 1, v0
	s_add_co_i32 s4, s4, s3
	s_cmp_eq_u32 s5, 0
	s_cselect_b32 s3, ttmp9, s4
	s_delay_alu instid0(VALU_DEP_1) | instid1(SALU_CYCLE_1)
	v_lshl_add_u32 v0, s3, 9, v0
	s_wait_kmcnt 0x0
	s_delay_alu instid0(VALU_DEP_1)
	v_cmp_gt_i32_e32 vcc_lo, s2, v0
	s_and_saveexec_b32 s2, vcc_lo
	s_cbranch_execz .LBB7_2
; %bb.1:
	s_load_b128 s[0:3], s[0:1], 0x0
	v_ashrrev_i32_e32 v1, 31, v0
	s_delay_alu instid0(VALU_DEP_1) | instskip(SKIP_1) | instid1(VALU_DEP_1)
	v_lshlrev_b64_e32 v[0:1], 2, v[0:1]
	s_wait_kmcnt 0x0
	v_add_nc_u64_e32 v[2:3], s[0:1], v[0:1]
	v_add_nc_u64_e32 v[0:1], s[2:3], v[0:1]
	global_load_b64 v[2:3], v[2:3], off
	s_wait_loadcnt 0x0
	v_cvt_pk_fp8_f32 v2, v2, v3
	s_delay_alu instid0(VALU_DEP_1) | instskip(NEXT) | instid1(VALU_DEP_1)
	v_and_b32_e32 v2, 0xffff, v2
	v_cvt_pk_f32_fp8_e32 v[2:3], v2
	global_store_b64 v[0:1], v[2:3], off
.LBB7_2:
	s_endpgm
	.section	.rodata,"a",@progbits
	.p2align	6, 0x0
	.amdhsa_kernel _Z32dtype_convert_fp32_fp8_x2_kernelILi256EEvPKfPfi
		.amdhsa_group_segment_fixed_size 0
		.amdhsa_private_segment_fixed_size 0
		.amdhsa_kernarg_size 20
		.amdhsa_user_sgpr_count 2
		.amdhsa_user_sgpr_dispatch_ptr 0
		.amdhsa_user_sgpr_queue_ptr 0
		.amdhsa_user_sgpr_kernarg_segment_ptr 1
		.amdhsa_user_sgpr_dispatch_id 0
		.amdhsa_user_sgpr_kernarg_preload_length 0
		.amdhsa_user_sgpr_kernarg_preload_offset 0
		.amdhsa_user_sgpr_private_segment_size 0
		.amdhsa_wavefront_size32 1
		.amdhsa_uses_dynamic_stack 0
		.amdhsa_enable_private_segment 0
		.amdhsa_system_sgpr_workgroup_id_x 1
		.amdhsa_system_sgpr_workgroup_id_y 0
		.amdhsa_system_sgpr_workgroup_id_z 0
		.amdhsa_system_sgpr_workgroup_info 0
		.amdhsa_system_vgpr_workitem_id 0
		.amdhsa_next_free_vgpr 4
		.amdhsa_next_free_sgpr 6
		.amdhsa_named_barrier_count 0
		.amdhsa_reserve_vcc 1
		.amdhsa_float_round_mode_32 0
		.amdhsa_float_round_mode_16_64 0
		.amdhsa_float_denorm_mode_32 3
		.amdhsa_float_denorm_mode_16_64 3
		.amdhsa_fp16_overflow 0
		.amdhsa_memory_ordered 1
		.amdhsa_forward_progress 1
		.amdhsa_inst_pref_size 2
		.amdhsa_round_robin_scheduling 0
		.amdhsa_exception_fp_ieee_invalid_op 0
		.amdhsa_exception_fp_denorm_src 0
		.amdhsa_exception_fp_ieee_div_zero 0
		.amdhsa_exception_fp_ieee_overflow 0
		.amdhsa_exception_fp_ieee_underflow 0
		.amdhsa_exception_fp_ieee_inexact 0
		.amdhsa_exception_int_div_zero 0
	.end_amdhsa_kernel
	.section	.text._Z32dtype_convert_fp32_fp8_x2_kernelILi256EEvPKfPfi,"axG",@progbits,_Z32dtype_convert_fp32_fp8_x2_kernelILi256EEvPKfPfi,comdat
.Lfunc_end7:
	.size	_Z32dtype_convert_fp32_fp8_x2_kernelILi256EEvPKfPfi, .Lfunc_end7-_Z32dtype_convert_fp32_fp8_x2_kernelILi256EEvPKfPfi
                                        ; -- End function
	.set _Z32dtype_convert_fp32_fp8_x2_kernelILi256EEvPKfPfi.num_vgpr, 4
	.set _Z32dtype_convert_fp32_fp8_x2_kernelILi256EEvPKfPfi.num_agpr, 0
	.set _Z32dtype_convert_fp32_fp8_x2_kernelILi256EEvPKfPfi.numbered_sgpr, 6
	.set _Z32dtype_convert_fp32_fp8_x2_kernelILi256EEvPKfPfi.num_named_barrier, 0
	.set _Z32dtype_convert_fp32_fp8_x2_kernelILi256EEvPKfPfi.private_seg_size, 0
	.set _Z32dtype_convert_fp32_fp8_x2_kernelILi256EEvPKfPfi.uses_vcc, 1
	.set _Z32dtype_convert_fp32_fp8_x2_kernelILi256EEvPKfPfi.uses_flat_scratch, 0
	.set _Z32dtype_convert_fp32_fp8_x2_kernelILi256EEvPKfPfi.has_dyn_sized_stack, 0
	.set _Z32dtype_convert_fp32_fp8_x2_kernelILi256EEvPKfPfi.has_recursion, 0
	.set _Z32dtype_convert_fp32_fp8_x2_kernelILi256EEvPKfPfi.has_indirect_call, 0
	.section	.AMDGPU.csdata,"",@progbits
; Kernel info:
; codeLenInByte = 168
; TotalNumSgprs: 8
; NumVgprs: 4
; ScratchSize: 0
; MemoryBound: 0
; FloatMode: 240
; IeeeMode: 1
; LDSByteSize: 0 bytes/workgroup (compile time only)
; SGPRBlocks: 0
; VGPRBlocks: 0
; NumSGPRsForWavesPerEU: 8
; NumVGPRsForWavesPerEU: 4
; NamedBarCnt: 0
; Occupancy: 16
; WaveLimiterHint : 0
; COMPUTE_PGM_RSRC2:SCRATCH_EN: 0
; COMPUTE_PGM_RSRC2:USER_SGPR: 2
; COMPUTE_PGM_RSRC2:TRAP_HANDLER: 0
; COMPUTE_PGM_RSRC2:TGID_X_EN: 1
; COMPUTE_PGM_RSRC2:TGID_Y_EN: 0
; COMPUTE_PGM_RSRC2:TGID_Z_EN: 0
; COMPUTE_PGM_RSRC2:TIDIG_COMP_CNT: 0
	.section	.text._Z34dtype_convert_fp32_fp8_vec8_kernelILi256EEvPKfPfi,"axG",@progbits,_Z34dtype_convert_fp32_fp8_vec8_kernelILi256EEvPKfPfi,comdat
	.protected	_Z34dtype_convert_fp32_fp8_vec8_kernelILi256EEvPKfPfi ; -- Begin function _Z34dtype_convert_fp32_fp8_vec8_kernelILi256EEvPKfPfi
	.globl	_Z34dtype_convert_fp32_fp8_vec8_kernelILi256EEvPKfPfi
	.p2align	8
	.type	_Z34dtype_convert_fp32_fp8_vec8_kernelILi256EEvPKfPfi,@function
_Z34dtype_convert_fp32_fp8_vec8_kernelILi256EEvPKfPfi: ; @_Z34dtype_convert_fp32_fp8_vec8_kernelILi256EEvPKfPfi
; %bb.0:
	s_load_b32 s2, s[0:1], 0x10
	s_bfe_u32 s3, ttmp6, 0x4000c
	s_and_b32 s4, ttmp6, 15
	s_add_co_i32 s3, s3, 1
	s_getreg_b32 s5, hwreg(HW_REG_IB_STS2, 6, 4)
	s_mul_i32 s3, ttmp9, s3
	v_lshlrev_b32_e32 v0, 3, v0
	s_add_co_i32 s4, s4, s3
	s_cmp_eq_u32 s5, 0
	s_cselect_b32 s3, ttmp9, s4
	s_delay_alu instid0(VALU_DEP_1) | instid1(SALU_CYCLE_1)
	v_lshl_add_u32 v0, s3, 11, v0
	s_wait_kmcnt 0x0
	s_delay_alu instid0(VALU_DEP_1)
	v_cmp_gt_i32_e32 vcc_lo, s2, v0
	s_and_saveexec_b32 s2, vcc_lo
	s_cbranch_execz .LBB8_2
; %bb.1:
	s_load_b128 s[0:3], s[0:1], 0x0
	v_ashrrev_i32_e32 v1, 31, v0
	s_delay_alu instid0(VALU_DEP_1) | instskip(SKIP_1) | instid1(VALU_DEP_1)
	v_lshlrev_b64_e32 v[8:9], 2, v[0:1]
	s_wait_kmcnt 0x0
	v_add_nc_u64_e32 v[10:11], s[0:1], v[8:9]
	v_add_nc_u64_e32 v[8:9], s[2:3], v[8:9]
	s_clause 0x1
	global_load_b128 v[0:3], v[10:11], off
	global_load_b128 v[4:7], v[10:11], off offset:16
	s_wait_loadcnt 0x1
	s_wait_xcnt 0x0
	v_cvt_pk_fp8_f32 v10, v0, v1
	s_wait_loadcnt 0x0
	v_cvt_pk_fp8_f32 v11, v4, v5
	s_delay_alu instid0(VALU_DEP_2) | instskip(NEXT) | instid1(VALU_DEP_2)
	v_cvt_pk_fp8_f32 v10, v2, v3 op_sel:[0,0,1]
	v_cvt_pk_fp8_f32 v11, v6, v7 op_sel:[0,0,1]
	s_delay_alu instid0(VALU_DEP_2) | instskip(SKIP_1) | instid1(VALU_DEP_3)
	v_cvt_pk_f32_fp8_e32 v[0:1], v10
	v_cvt_pk_f32_fp8_e64 v[2:3], v10 op_sel:[1,0]
	v_cvt_pk_f32_fp8_e32 v[4:5], v11
	v_cvt_pk_f32_fp8_e64 v[6:7], v11 op_sel:[1,0]
	s_clause 0x1
	global_store_b128 v[8:9], v[0:3], off
	global_store_b128 v[8:9], v[4:7], off offset:16
.LBB8_2:
	s_endpgm
	.section	.rodata,"a",@progbits
	.p2align	6, 0x0
	.amdhsa_kernel _Z34dtype_convert_fp32_fp8_vec8_kernelILi256EEvPKfPfi
		.amdhsa_group_segment_fixed_size 0
		.amdhsa_private_segment_fixed_size 0
		.amdhsa_kernarg_size 20
		.amdhsa_user_sgpr_count 2
		.amdhsa_user_sgpr_dispatch_ptr 0
		.amdhsa_user_sgpr_queue_ptr 0
		.amdhsa_user_sgpr_kernarg_segment_ptr 1
		.amdhsa_user_sgpr_dispatch_id 0
		.amdhsa_user_sgpr_kernarg_preload_length 0
		.amdhsa_user_sgpr_kernarg_preload_offset 0
		.amdhsa_user_sgpr_private_segment_size 0
		.amdhsa_wavefront_size32 1
		.amdhsa_uses_dynamic_stack 0
		.amdhsa_enable_private_segment 0
		.amdhsa_system_sgpr_workgroup_id_x 1
		.amdhsa_system_sgpr_workgroup_id_y 0
		.amdhsa_system_sgpr_workgroup_id_z 0
		.amdhsa_system_sgpr_workgroup_info 0
		.amdhsa_system_vgpr_workitem_id 0
		.amdhsa_next_free_vgpr 12
		.amdhsa_next_free_sgpr 6
		.amdhsa_named_barrier_count 0
		.amdhsa_reserve_vcc 1
		.amdhsa_float_round_mode_32 0
		.amdhsa_float_round_mode_16_64 0
		.amdhsa_float_denorm_mode_32 3
		.amdhsa_float_denorm_mode_16_64 3
		.amdhsa_fp16_overflow 0
		.amdhsa_memory_ordered 1
		.amdhsa_forward_progress 1
		.amdhsa_inst_pref_size 2
		.amdhsa_round_robin_scheduling 0
		.amdhsa_exception_fp_ieee_invalid_op 0
		.amdhsa_exception_fp_denorm_src 0
		.amdhsa_exception_fp_ieee_div_zero 0
		.amdhsa_exception_fp_ieee_overflow 0
		.amdhsa_exception_fp_ieee_underflow 0
		.amdhsa_exception_fp_ieee_inexact 0
		.amdhsa_exception_int_div_zero 0
	.end_amdhsa_kernel
	.section	.text._Z34dtype_convert_fp32_fp8_vec8_kernelILi256EEvPKfPfi,"axG",@progbits,_Z34dtype_convert_fp32_fp8_vec8_kernelILi256EEvPKfPfi,comdat
.Lfunc_end8:
	.size	_Z34dtype_convert_fp32_fp8_vec8_kernelILi256EEvPKfPfi, .Lfunc_end8-_Z34dtype_convert_fp32_fp8_vec8_kernelILi256EEvPKfPfi
                                        ; -- End function
	.set _Z34dtype_convert_fp32_fp8_vec8_kernelILi256EEvPKfPfi.num_vgpr, 12
	.set _Z34dtype_convert_fp32_fp8_vec8_kernelILi256EEvPKfPfi.num_agpr, 0
	.set _Z34dtype_convert_fp32_fp8_vec8_kernelILi256EEvPKfPfi.numbered_sgpr, 6
	.set _Z34dtype_convert_fp32_fp8_vec8_kernelILi256EEvPKfPfi.num_named_barrier, 0
	.set _Z34dtype_convert_fp32_fp8_vec8_kernelILi256EEvPKfPfi.private_seg_size, 0
	.set _Z34dtype_convert_fp32_fp8_vec8_kernelILi256EEvPKfPfi.uses_vcc, 1
	.set _Z34dtype_convert_fp32_fp8_vec8_kernelILi256EEvPKfPfi.uses_flat_scratch, 0
	.set _Z34dtype_convert_fp32_fp8_vec8_kernelILi256EEvPKfPfi.has_dyn_sized_stack, 0
	.set _Z34dtype_convert_fp32_fp8_vec8_kernelILi256EEvPKfPfi.has_recursion, 0
	.set _Z34dtype_convert_fp32_fp8_vec8_kernelILi256EEvPKfPfi.has_indirect_call, 0
	.section	.AMDGPU.csdata,"",@progbits
; Kernel info:
; codeLenInByte = 248
; TotalNumSgprs: 8
; NumVgprs: 12
; ScratchSize: 0
; MemoryBound: 0
; FloatMode: 240
; IeeeMode: 1
; LDSByteSize: 0 bytes/workgroup (compile time only)
; SGPRBlocks: 0
; VGPRBlocks: 0
; NumSGPRsForWavesPerEU: 8
; NumVGPRsForWavesPerEU: 12
; NamedBarCnt: 0
; Occupancy: 16
; WaveLimiterHint : 0
; COMPUTE_PGM_RSRC2:SCRATCH_EN: 0
; COMPUTE_PGM_RSRC2:USER_SGPR: 2
; COMPUTE_PGM_RSRC2:TRAP_HANDLER: 0
; COMPUTE_PGM_RSRC2:TGID_X_EN: 1
; COMPUTE_PGM_RSRC2:TGID_Y_EN: 0
; COMPUTE_PGM_RSRC2:TGID_Z_EN: 0
; COMPUTE_PGM_RSRC2:TIDIG_COMP_CNT: 0
	.section	.text._Z32dtype_convert_fp32_fp4_x2_kernelILi256EEvPKfPfi,"axG",@progbits,_Z32dtype_convert_fp32_fp4_x2_kernelILi256EEvPKfPfi,comdat
	.protected	_Z32dtype_convert_fp32_fp4_x2_kernelILi256EEvPKfPfi ; -- Begin function _Z32dtype_convert_fp32_fp4_x2_kernelILi256EEvPKfPfi
	.globl	_Z32dtype_convert_fp32_fp4_x2_kernelILi256EEvPKfPfi
	.p2align	8
	.type	_Z32dtype_convert_fp32_fp4_x2_kernelILi256EEvPKfPfi,@function
_Z32dtype_convert_fp32_fp4_x2_kernelILi256EEvPKfPfi: ; @_Z32dtype_convert_fp32_fp4_x2_kernelILi256EEvPKfPfi
; %bb.0:
	s_load_b32 s2, s[0:1], 0x10
	s_bfe_u32 s3, ttmp6, 0x4000c
	s_and_b32 s4, ttmp6, 15
	s_add_co_i32 s3, s3, 1
	s_getreg_b32 s5, hwreg(HW_REG_IB_STS2, 6, 4)
	s_mul_i32 s3, ttmp9, s3
	v_lshlrev_b32_e32 v0, 1, v0
	s_add_co_i32 s4, s4, s3
	s_cmp_eq_u32 s5, 0
	s_cselect_b32 s3, ttmp9, s4
	s_delay_alu instid0(VALU_DEP_1) | instid1(SALU_CYCLE_1)
	v_lshl_add_u32 v0, s3, 9, v0
	s_wait_kmcnt 0x0
	s_delay_alu instid0(VALU_DEP_1)
	v_cmp_gt_i32_e32 vcc_lo, s2, v0
	s_and_saveexec_b32 s2, vcc_lo
	s_cbranch_execz .LBB9_2
; %bb.1:
	s_load_b128 s[0:3], s[0:1], 0x0
	v_dual_mov_b32 v2, 0 :: v_dual_ashrrev_i32 v1, 31, v0
	s_delay_alu instid0(VALU_DEP_1) | instskip(NEXT) | instid1(VALU_DEP_2)
	v_lshlrev_b64_e32 v[8:9], 2, v[0:1]
	v_dual_mov_b32 v3, v2 :: v_dual_mov_b32 v4, v2
	v_dual_mov_b32 v5, v2 :: v_dual_mov_b32 v6, v2
	v_mov_b32_e32 v7, v2
	s_wait_kmcnt 0x0
	s_delay_alu instid0(VALU_DEP_4) | instskip(SKIP_4) | instid1(VALU_DEP_1)
	v_add_nc_u64_e32 v[0:1], s[0:1], v[8:9]
	v_add_nc_u64_e32 v[8:9], s[2:3], v[8:9]
	global_load_b64 v[0:1], v[0:1], off
	s_wait_loadcnt 0x0
	v_cvt_scalef32_pk8_fp4_f32 v10, v[0:7], 1.0
	v_and_b32_e32 v0, 0xff, v10
	s_delay_alu instid0(VALU_DEP_1)
	v_cvt_scale_pk8_f32_fp4 v[0:7], v0, 0x7f7f7f7f
	global_store_b64 v[8:9], v[0:1], off
.LBB9_2:
	s_endpgm
	.section	.rodata,"a",@progbits
	.p2align	6, 0x0
	.amdhsa_kernel _Z32dtype_convert_fp32_fp4_x2_kernelILi256EEvPKfPfi
		.amdhsa_group_segment_fixed_size 0
		.amdhsa_private_segment_fixed_size 0
		.amdhsa_kernarg_size 20
		.amdhsa_user_sgpr_count 2
		.amdhsa_user_sgpr_dispatch_ptr 0
		.amdhsa_user_sgpr_queue_ptr 0
		.amdhsa_user_sgpr_kernarg_segment_ptr 1
		.amdhsa_user_sgpr_dispatch_id 0
		.amdhsa_user_sgpr_kernarg_preload_length 0
		.amdhsa_user_sgpr_kernarg_preload_offset 0
		.amdhsa_user_sgpr_private_segment_size 0
		.amdhsa_wavefront_size32 1
		.amdhsa_uses_dynamic_stack 0
		.amdhsa_enable_private_segment 0
		.amdhsa_system_sgpr_workgroup_id_x 1
		.amdhsa_system_sgpr_workgroup_id_y 0
		.amdhsa_system_sgpr_workgroup_id_z 0
		.amdhsa_system_sgpr_workgroup_info 0
		.amdhsa_system_vgpr_workitem_id 0
		.amdhsa_next_free_vgpr 11
		.amdhsa_next_free_sgpr 6
		.amdhsa_named_barrier_count 0
		.amdhsa_reserve_vcc 1
		.amdhsa_float_round_mode_32 0
		.amdhsa_float_round_mode_16_64 0
		.amdhsa_float_denorm_mode_32 3
		.amdhsa_float_denorm_mode_16_64 3
		.amdhsa_fp16_overflow 0
		.amdhsa_memory_ordered 1
		.amdhsa_forward_progress 1
		.amdhsa_inst_pref_size 2
		.amdhsa_round_robin_scheduling 0
		.amdhsa_exception_fp_ieee_invalid_op 0
		.amdhsa_exception_fp_denorm_src 0
		.amdhsa_exception_fp_ieee_div_zero 0
		.amdhsa_exception_fp_ieee_overflow 0
		.amdhsa_exception_fp_ieee_underflow 0
		.amdhsa_exception_fp_ieee_inexact 0
		.amdhsa_exception_int_div_zero 0
	.end_amdhsa_kernel
	.section	.text._Z32dtype_convert_fp32_fp4_x2_kernelILi256EEvPKfPfi,"axG",@progbits,_Z32dtype_convert_fp32_fp4_x2_kernelILi256EEvPKfPfi,comdat
.Lfunc_end9:
	.size	_Z32dtype_convert_fp32_fp4_x2_kernelILi256EEvPKfPfi, .Lfunc_end9-_Z32dtype_convert_fp32_fp4_x2_kernelILi256EEvPKfPfi
                                        ; -- End function
	.set _Z32dtype_convert_fp32_fp4_x2_kernelILi256EEvPKfPfi.num_vgpr, 11
	.set _Z32dtype_convert_fp32_fp4_x2_kernelILi256EEvPKfPfi.num_agpr, 0
	.set _Z32dtype_convert_fp32_fp4_x2_kernelILi256EEvPKfPfi.numbered_sgpr, 6
	.set _Z32dtype_convert_fp32_fp4_x2_kernelILi256EEvPKfPfi.num_named_barrier, 0
	.set _Z32dtype_convert_fp32_fp4_x2_kernelILi256EEvPKfPfi.private_seg_size, 0
	.set _Z32dtype_convert_fp32_fp4_x2_kernelILi256EEvPKfPfi.uses_vcc, 1
	.set _Z32dtype_convert_fp32_fp4_x2_kernelILi256EEvPKfPfi.uses_flat_scratch, 0
	.set _Z32dtype_convert_fp32_fp4_x2_kernelILi256EEvPKfPfi.has_dyn_sized_stack, 0
	.set _Z32dtype_convert_fp32_fp4_x2_kernelILi256EEvPKfPfi.has_recursion, 0
	.set _Z32dtype_convert_fp32_fp4_x2_kernelILi256EEvPKfPfi.has_indirect_call, 0
	.section	.AMDGPU.csdata,"",@progbits
; Kernel info:
; codeLenInByte = 204
; TotalNumSgprs: 8
; NumVgprs: 11
; ScratchSize: 0
; MemoryBound: 0
; FloatMode: 240
; IeeeMode: 1
; LDSByteSize: 0 bytes/workgroup (compile time only)
; SGPRBlocks: 0
; VGPRBlocks: 0
; NumSGPRsForWavesPerEU: 8
; NumVGPRsForWavesPerEU: 11
; NamedBarCnt: 0
; Occupancy: 16
; WaveLimiterHint : 0
; COMPUTE_PGM_RSRC2:SCRATCH_EN: 0
; COMPUTE_PGM_RSRC2:USER_SGPR: 2
; COMPUTE_PGM_RSRC2:TRAP_HANDLER: 0
; COMPUTE_PGM_RSRC2:TGID_X_EN: 1
; COMPUTE_PGM_RSRC2:TGID_Y_EN: 0
; COMPUTE_PGM_RSRC2:TGID_Z_EN: 0
; COMPUTE_PGM_RSRC2:TIDIG_COMP_CNT: 0
	.section	.text._Z32dtype_convert_fp32_fp4_x4_kernelILi256EEvPKfPfi,"axG",@progbits,_Z32dtype_convert_fp32_fp4_x4_kernelILi256EEvPKfPfi,comdat
	.protected	_Z32dtype_convert_fp32_fp4_x4_kernelILi256EEvPKfPfi ; -- Begin function _Z32dtype_convert_fp32_fp4_x4_kernelILi256EEvPKfPfi
	.globl	_Z32dtype_convert_fp32_fp4_x4_kernelILi256EEvPKfPfi
	.p2align	8
	.type	_Z32dtype_convert_fp32_fp4_x4_kernelILi256EEvPKfPfi,@function
_Z32dtype_convert_fp32_fp4_x4_kernelILi256EEvPKfPfi: ; @_Z32dtype_convert_fp32_fp4_x4_kernelILi256EEvPKfPfi
; %bb.0:
	s_load_b32 s2, s[0:1], 0x10
	s_bfe_u32 s3, ttmp6, 0x4000c
	s_and_b32 s4, ttmp6, 15
	s_add_co_i32 s3, s3, 1
	s_getreg_b32 s5, hwreg(HW_REG_IB_STS2, 6, 4)
	s_mul_i32 s3, ttmp9, s3
	v_lshlrev_b32_e32 v0, 2, v0
	s_add_co_i32 s4, s4, s3
	s_cmp_eq_u32 s5, 0
	s_cselect_b32 s3, ttmp9, s4
	s_delay_alu instid0(VALU_DEP_1) | instid1(SALU_CYCLE_1)
	v_lshl_add_u32 v0, s3, 10, v0
	s_wait_kmcnt 0x0
	s_delay_alu instid0(VALU_DEP_1)
	v_cmp_gt_i32_e32 vcc_lo, s2, v0
	s_and_saveexec_b32 s2, vcc_lo
	s_cbranch_execz .LBB10_2
; %bb.1:
	s_load_b128 s[0:3], s[0:1], 0x0
	v_dual_mov_b32 v4, 0 :: v_dual_ashrrev_i32 v1, 31, v0
	s_delay_alu instid0(VALU_DEP_1) | instskip(NEXT) | instid1(VALU_DEP_2)
	v_lshlrev_b64_e32 v[8:9], 2, v[0:1]
	v_dual_mov_b32 v5, v4 :: v_dual_mov_b32 v6, v4
	v_mov_b32_e32 v7, v4
	s_wait_kmcnt 0x0
	s_delay_alu instid0(VALU_DEP_3) | instskip(SKIP_4) | instid1(VALU_DEP_1)
	v_add_nc_u64_e32 v[0:1], s[0:1], v[8:9]
	v_add_nc_u64_e32 v[8:9], s[2:3], v[8:9]
	global_load_b128 v[0:3], v[0:1], off
	s_wait_loadcnt 0x0
	v_cvt_scalef32_pk8_fp4_f32 v10, v[0:7], 1.0
	v_and_b32_e32 v0, 0xffff, v10
	s_delay_alu instid0(VALU_DEP_1)
	v_cvt_scale_pk8_f32_fp4 v[0:7], v0, 0x7f7f7f7f
	global_store_b128 v[8:9], v[0:3], off
.LBB10_2:
	s_endpgm
	.section	.rodata,"a",@progbits
	.p2align	6, 0x0
	.amdhsa_kernel _Z32dtype_convert_fp32_fp4_x4_kernelILi256EEvPKfPfi
		.amdhsa_group_segment_fixed_size 0
		.amdhsa_private_segment_fixed_size 0
		.amdhsa_kernarg_size 20
		.amdhsa_user_sgpr_count 2
		.amdhsa_user_sgpr_dispatch_ptr 0
		.amdhsa_user_sgpr_queue_ptr 0
		.amdhsa_user_sgpr_kernarg_segment_ptr 1
		.amdhsa_user_sgpr_dispatch_id 0
		.amdhsa_user_sgpr_kernarg_preload_length 0
		.amdhsa_user_sgpr_kernarg_preload_offset 0
		.amdhsa_user_sgpr_private_segment_size 0
		.amdhsa_wavefront_size32 1
		.amdhsa_uses_dynamic_stack 0
		.amdhsa_enable_private_segment 0
		.amdhsa_system_sgpr_workgroup_id_x 1
		.amdhsa_system_sgpr_workgroup_id_y 0
		.amdhsa_system_sgpr_workgroup_id_z 0
		.amdhsa_system_sgpr_workgroup_info 0
		.amdhsa_system_vgpr_workitem_id 0
		.amdhsa_next_free_vgpr 11
		.amdhsa_next_free_sgpr 6
		.amdhsa_named_barrier_count 0
		.amdhsa_reserve_vcc 1
		.amdhsa_float_round_mode_32 0
		.amdhsa_float_round_mode_16_64 0
		.amdhsa_float_denorm_mode_32 3
		.amdhsa_float_denorm_mode_16_64 3
		.amdhsa_fp16_overflow 0
		.amdhsa_memory_ordered 1
		.amdhsa_forward_progress 1
		.amdhsa_inst_pref_size 2
		.amdhsa_round_robin_scheduling 0
		.amdhsa_exception_fp_ieee_invalid_op 0
		.amdhsa_exception_fp_denorm_src 0
		.amdhsa_exception_fp_ieee_div_zero 0
		.amdhsa_exception_fp_ieee_overflow 0
		.amdhsa_exception_fp_ieee_underflow 0
		.amdhsa_exception_fp_ieee_inexact 0
		.amdhsa_exception_int_div_zero 0
	.end_amdhsa_kernel
	.section	.text._Z32dtype_convert_fp32_fp4_x4_kernelILi256EEvPKfPfi,"axG",@progbits,_Z32dtype_convert_fp32_fp4_x4_kernelILi256EEvPKfPfi,comdat
.Lfunc_end10:
	.size	_Z32dtype_convert_fp32_fp4_x4_kernelILi256EEvPKfPfi, .Lfunc_end10-_Z32dtype_convert_fp32_fp4_x4_kernelILi256EEvPKfPfi
                                        ; -- End function
	.set _Z32dtype_convert_fp32_fp4_x4_kernelILi256EEvPKfPfi.num_vgpr, 11
	.set _Z32dtype_convert_fp32_fp4_x4_kernelILi256EEvPKfPfi.num_agpr, 0
	.set _Z32dtype_convert_fp32_fp4_x4_kernelILi256EEvPKfPfi.numbered_sgpr, 6
	.set _Z32dtype_convert_fp32_fp4_x4_kernelILi256EEvPKfPfi.num_named_barrier, 0
	.set _Z32dtype_convert_fp32_fp4_x4_kernelILi256EEvPKfPfi.private_seg_size, 0
	.set _Z32dtype_convert_fp32_fp4_x4_kernelILi256EEvPKfPfi.uses_vcc, 1
	.set _Z32dtype_convert_fp32_fp4_x4_kernelILi256EEvPKfPfi.uses_flat_scratch, 0
	.set _Z32dtype_convert_fp32_fp4_x4_kernelILi256EEvPKfPfi.has_dyn_sized_stack, 0
	.set _Z32dtype_convert_fp32_fp4_x4_kernelILi256EEvPKfPfi.has_recursion, 0
	.set _Z32dtype_convert_fp32_fp4_x4_kernelILi256EEvPKfPfi.has_indirect_call, 0
	.section	.AMDGPU.csdata,"",@progbits
; Kernel info:
; codeLenInByte = 196
; TotalNumSgprs: 8
; NumVgprs: 11
; ScratchSize: 0
; MemoryBound: 0
; FloatMode: 240
; IeeeMode: 1
; LDSByteSize: 0 bytes/workgroup (compile time only)
; SGPRBlocks: 0
; VGPRBlocks: 0
; NumSGPRsForWavesPerEU: 8
; NumVGPRsForWavesPerEU: 11
; NamedBarCnt: 0
; Occupancy: 16
; WaveLimiterHint : 0
; COMPUTE_PGM_RSRC2:SCRATCH_EN: 0
; COMPUTE_PGM_RSRC2:USER_SGPR: 2
; COMPUTE_PGM_RSRC2:TRAP_HANDLER: 0
; COMPUTE_PGM_RSRC2:TGID_X_EN: 1
; COMPUTE_PGM_RSRC2:TGID_Y_EN: 0
; COMPUTE_PGM_RSRC2:TGID_Z_EN: 0
; COMPUTE_PGM_RSRC2:TIDIG_COMP_CNT: 0
	.section	.AMDGPU.gpr_maximums,"",@progbits
	.set amdgpu.max_num_vgpr, 0
	.set amdgpu.max_num_agpr, 0
	.set amdgpu.max_num_sgpr, 0
	.section	.AMDGPU.csdata,"",@progbits
	.type	__hip_cuid_8ebeb29a59994fe4,@object ; @__hip_cuid_8ebeb29a59994fe4
	.section	.bss,"aw",@nobits
	.globl	__hip_cuid_8ebeb29a59994fe4
__hip_cuid_8ebeb29a59994fe4:
	.byte	0                               ; 0x0
	.size	__hip_cuid_8ebeb29a59994fe4, 1

	.ident	"AMD clang version 22.0.0git (https://github.com/RadeonOpenCompute/llvm-project roc-7.2.4 26084 f58b06dce1f9c15707c5f808fd002e18c2accf7e)"
	.section	".note.GNU-stack","",@progbits
	.addrsig
	.addrsig_sym __hip_cuid_8ebeb29a59994fe4
	.amdgpu_metadata
---
amdhsa.kernels:
  - .args:
      - .actual_access:  read_only
        .address_space:  global
        .offset:         0
        .size:           8
        .value_kind:     global_buffer
      - .actual_access:  write_only
        .address_space:  global
        .offset:         8
        .size:           8
        .value_kind:     global_buffer
      - .offset:         16
        .size:           4
        .value_kind:     by_value
    .group_segment_fixed_size: 0
    .kernarg_segment_align: 8
    .kernarg_segment_size: 20
    .language:       OpenCL C
    .language_version:
      - 2
      - 0
    .max_flat_workgroup_size: 1024
    .name:           _Z30dtype_convert_fp32_bf16_kernelILi256EEvPKfPfi
    .private_segment_fixed_size: 0
    .sgpr_count:     8
    .sgpr_spill_count: 0
    .symbol:         _Z30dtype_convert_fp32_bf16_kernelILi256EEvPKfPfi.kd
    .uniform_work_group_size: 1
    .uses_dynamic_stack: false
    .vgpr_count:     2
    .vgpr_spill_count: 0
    .wavefront_size: 32
  - .args:
      - .actual_access:  read_only
        .address_space:  global
        .offset:         0
        .size:           8
        .value_kind:     global_buffer
      - .actual_access:  write_only
        .address_space:  global
        .offset:         8
        .size:           8
        .value_kind:     global_buffer
      - .offset:         16
        .size:           4
        .value_kind:     by_value
    .group_segment_fixed_size: 0
    .kernarg_segment_align: 8
    .kernarg_segment_size: 20
    .language:       OpenCL C
    .language_version:
      - 2
      - 0
    .max_flat_workgroup_size: 1024
    .name:           _Z30dtype_convert_fp32_fp16_kernelILi256EEvPKfPfi
    .private_segment_fixed_size: 0
    .sgpr_count:     8
    .sgpr_spill_count: 0
    .symbol:         _Z30dtype_convert_fp32_fp16_kernelILi256EEvPKfPfi.kd
    .uniform_work_group_size: 1
    .uses_dynamic_stack: false
    .vgpr_count:     2
    .vgpr_spill_count: 0
    .wavefront_size: 32
  - .args:
      - .actual_access:  read_only
        .address_space:  global
        .offset:         0
        .size:           8
        .value_kind:     global_buffer
      - .actual_access:  write_only
        .address_space:  global
        .offset:         8
        .size:           8
        .value_kind:     global_buffer
      - .offset:         16
        .size:           4
        .value_kind:     by_value
    .group_segment_fixed_size: 0
    .kernarg_segment_align: 8
    .kernarg_segment_size: 20
    .language:       OpenCL C
    .language_version:
      - 2
      - 0
    .max_flat_workgroup_size: 1024
    .name:           _Z29dtype_convert_fp32_fp8_kernelILi256EEvPKfPfi
    .private_segment_fixed_size: 0
    .sgpr_count:     8
    .sgpr_spill_count: 0
    .symbol:         _Z29dtype_convert_fp32_fp8_kernelILi256EEvPKfPfi.kd
    .uniform_work_group_size: 1
    .uses_dynamic_stack: false
    .vgpr_count:     7
    .vgpr_spill_count: 0
    .wavefront_size: 32
  - .args:
      - .actual_access:  read_only
        .address_space:  global
        .offset:         0
        .size:           8
        .value_kind:     global_buffer
      - .actual_access:  write_only
        .address_space:  global
        .offset:         8
        .size:           8
        .value_kind:     global_buffer
      - .offset:         16
        .size:           4
        .value_kind:     by_value
    .group_segment_fixed_size: 0
    .kernarg_segment_align: 8
    .kernarg_segment_size: 20
    .language:       OpenCL C
    .language_version:
      - 2
      - 0
    .max_flat_workgroup_size: 1024
    .name:           _Z29dtype_convert_fp32_fp4_kernelILi256EEvPKfPfi
    .private_segment_fixed_size: 0
    .sgpr_count:     8
    .sgpr_spill_count: 0
    .symbol:         _Z29dtype_convert_fp32_fp4_kernelILi256EEvPKfPfi.kd
    .uniform_work_group_size: 1
    .uses_dynamic_stack: false
    .vgpr_count:     12
    .vgpr_spill_count: 0
    .wavefront_size: 32
  - .args:
      - .actual_access:  read_only
        .address_space:  global
        .offset:         0
        .size:           8
        .value_kind:     global_buffer
      - .actual_access:  write_only
        .address_space:  global
        .offset:         8
        .size:           8
        .value_kind:     global_buffer
      - .offset:         16
        .size:           4
        .value_kind:     by_value
    .group_segment_fixed_size: 0
    .kernarg_segment_align: 8
    .kernarg_segment_size: 20
    .language:       OpenCL C
    .language_version:
      - 2
      - 0
    .max_flat_workgroup_size: 1024
    .name:           _Z36dtype_convert_fp32_fp8_scalar_kernelILi256EEvPKfPfi
    .private_segment_fixed_size: 0
    .sgpr_count:     8
    .sgpr_spill_count: 0
    .symbol:         _Z36dtype_convert_fp32_fp8_scalar_kernelILi256EEvPKfPfi.kd
    .uniform_work_group_size: 1
    .uses_dynamic_stack: false
    .vgpr_count:     2
    .vgpr_spill_count: 0
    .wavefront_size: 32
  - .args:
      - .actual_access:  read_only
        .address_space:  global
        .offset:         0
        .size:           8
        .value_kind:     global_buffer
      - .actual_access:  write_only
        .address_space:  global
        .offset:         8
        .size:           8
        .value_kind:     global_buffer
      - .offset:         16
        .size:           4
        .value_kind:     by_value
    .group_segment_fixed_size: 0
    .kernarg_segment_align: 8
    .kernarg_segment_size: 20
    .language:       OpenCL C
    .language_version:
      - 2
      - 0
    .max_flat_workgroup_size: 1024
    .name:           _Z35dtype_convert_fp32_bf16_vec4_kernelILi256EEvPKfPfi
    .private_segment_fixed_size: 0
    .sgpr_count:     8
    .sgpr_spill_count: 0
    .symbol:         _Z35dtype_convert_fp32_bf16_vec4_kernelILi256EEvPKfPfi.kd
    .uniform_work_group_size: 1
    .uses_dynamic_stack: false
    .vgpr_count:     6
    .vgpr_spill_count: 0
    .wavefront_size: 32
  - .args:
      - .actual_access:  read_only
        .address_space:  global
        .offset:         0
        .size:           8
        .value_kind:     global_buffer
      - .actual_access:  write_only
        .address_space:  global
        .offset:         8
        .size:           8
        .value_kind:     global_buffer
      - .offset:         16
        .size:           4
        .value_kind:     by_value
    .group_segment_fixed_size: 0
    .kernarg_segment_align: 8
    .kernarg_segment_size: 20
    .language:       OpenCL C
    .language_version:
      - 2
      - 0
    .max_flat_workgroup_size: 1024
    .name:           _Z35dtype_convert_fp32_fp16_vec4_kernelILi256EEvPKfPfi
    .private_segment_fixed_size: 0
    .sgpr_count:     8
    .sgpr_spill_count: 0
    .symbol:         _Z35dtype_convert_fp32_fp16_vec4_kernelILi256EEvPKfPfi.kd
    .uniform_work_group_size: 1
    .uses_dynamic_stack: false
    .vgpr_count:     7
    .vgpr_spill_count: 0
    .wavefront_size: 32
  - .args:
      - .actual_access:  read_only
        .address_space:  global
        .offset:         0
        .size:           8
        .value_kind:     global_buffer
      - .actual_access:  write_only
        .address_space:  global
        .offset:         8
        .size:           8
        .value_kind:     global_buffer
      - .offset:         16
        .size:           4
        .value_kind:     by_value
    .group_segment_fixed_size: 0
    .kernarg_segment_align: 8
    .kernarg_segment_size: 20
    .language:       OpenCL C
    .language_version:
      - 2
      - 0
    .max_flat_workgroup_size: 1024
    .name:           _Z32dtype_convert_fp32_fp8_x2_kernelILi256EEvPKfPfi
    .private_segment_fixed_size: 0
    .sgpr_count:     8
    .sgpr_spill_count: 0
    .symbol:         _Z32dtype_convert_fp32_fp8_x2_kernelILi256EEvPKfPfi.kd
    .uniform_work_group_size: 1
    .uses_dynamic_stack: false
    .vgpr_count:     4
    .vgpr_spill_count: 0
    .wavefront_size: 32
  - .args:
      - .actual_access:  read_only
        .address_space:  global
        .offset:         0
        .size:           8
        .value_kind:     global_buffer
      - .actual_access:  write_only
        .address_space:  global
        .offset:         8
        .size:           8
        .value_kind:     global_buffer
      - .offset:         16
        .size:           4
        .value_kind:     by_value
    .group_segment_fixed_size: 0
    .kernarg_segment_align: 8
    .kernarg_segment_size: 20
    .language:       OpenCL C
    .language_version:
      - 2
      - 0
    .max_flat_workgroup_size: 1024
    .name:           _Z34dtype_convert_fp32_fp8_vec8_kernelILi256EEvPKfPfi
    .private_segment_fixed_size: 0
    .sgpr_count:     8
    .sgpr_spill_count: 0
    .symbol:         _Z34dtype_convert_fp32_fp8_vec8_kernelILi256EEvPKfPfi.kd
    .uniform_work_group_size: 1
    .uses_dynamic_stack: false
    .vgpr_count:     12
    .vgpr_spill_count: 0
    .wavefront_size: 32
  - .args:
      - .actual_access:  read_only
        .address_space:  global
        .offset:         0
        .size:           8
        .value_kind:     global_buffer
      - .actual_access:  write_only
        .address_space:  global
        .offset:         8
        .size:           8
        .value_kind:     global_buffer
      - .offset:         16
        .size:           4
        .value_kind:     by_value
    .group_segment_fixed_size: 0
    .kernarg_segment_align: 8
    .kernarg_segment_size: 20
    .language:       OpenCL C
    .language_version:
      - 2
      - 0
    .max_flat_workgroup_size: 1024
    .name:           _Z32dtype_convert_fp32_fp4_x2_kernelILi256EEvPKfPfi
    .private_segment_fixed_size: 0
    .sgpr_count:     8
    .sgpr_spill_count: 0
    .symbol:         _Z32dtype_convert_fp32_fp4_x2_kernelILi256EEvPKfPfi.kd
    .uniform_work_group_size: 1
    .uses_dynamic_stack: false
    .vgpr_count:     11
    .vgpr_spill_count: 0
    .wavefront_size: 32
  - .args:
      - .actual_access:  read_only
        .address_space:  global
        .offset:         0
        .size:           8
        .value_kind:     global_buffer
      - .actual_access:  write_only
        .address_space:  global
        .offset:         8
        .size:           8
        .value_kind:     global_buffer
      - .offset:         16
        .size:           4
        .value_kind:     by_value
    .group_segment_fixed_size: 0
    .kernarg_segment_align: 8
    .kernarg_segment_size: 20
    .language:       OpenCL C
    .language_version:
      - 2
      - 0
    .max_flat_workgroup_size: 1024
    .name:           _Z32dtype_convert_fp32_fp4_x4_kernelILi256EEvPKfPfi
    .private_segment_fixed_size: 0
    .sgpr_count:     8
    .sgpr_spill_count: 0
    .symbol:         _Z32dtype_convert_fp32_fp4_x4_kernelILi256EEvPKfPfi.kd
    .uniform_work_group_size: 1
    .uses_dynamic_stack: false
    .vgpr_count:     11
    .vgpr_spill_count: 0
    .wavefront_size: 32
amdhsa.target:   amdgcn-amd-amdhsa--gfx1250
amdhsa.version:
  - 1
  - 2
...

	.end_amdgpu_metadata
